;; amdgpu-corpus repo=zjin-lcf/HeCBench kind=compiled arch=gfx1030 opt=O3
	.amdgcn_target "amdgcn-amd-amdhsa--gfx1030"
	.amdhsa_code_object_version 6
	.text
	.protected	_Z13k_cube_selectiiiPKiPi ; -- Begin function _Z13k_cube_selectiiiPKiPi
	.globl	_Z13k_cube_selectiiiPKiPi
	.p2align	8
	.type	_Z13k_cube_selectiiiPKiPi,@function
_Z13k_cube_selectiiiPKiPi:              ; @_Z13k_cube_selectiiiPKiPi
; %bb.0:
	s_load_dwordx2 s[8:9], s[4:5], 0x4
	s_mov_b32 s0, exec_lo
	s_waitcnt lgkmcnt(0)
	v_cmpx_gt_i32_e64 s8, v0
	s_cbranch_execz .LBB0_11
; %bb.1:
	s_clause 0x1
	s_load_dwordx4 s[12:15], s[4:5], 0x10
	s_load_dword s18, s[4:5], 0x2c
	s_mul_i32 s16, s8, s6
	v_mov_b32_e32 v17, 0
	s_mul_i32 s6, s16, 3
	s_mov_b32 s0, s9
	s_ashr_i32 s7, s6, 31
	s_mov_b32 s1, s9
	s_lshl_b64 s[10:11], s[6:7], 2
	s_mov_b32 s2, s9
	s_mov_b32 s3, s9
	;; [unrolled: 1-line block ×6, first 2 shown]
	s_waitcnt lgkmcnt(0)
	s_add_u32 s12, s12, s10
	s_addc_u32 s13, s13, s11
	s_lshl_b32 s16, s16, 3
	s_mov_b32 s11, 0
	s_ashr_i32 s17, s16, 31
	s_lshl_b64 s[16:17], s[16:17], 2
	s_add_u32 s14, s14, s16
	s_addc_u32 s15, s15, s17
	s_and_b32 s16, s18, 0xffff
	s_mov_b32 s17, 0
	s_branch .LBB0_3
.LBB0_2:                                ;   in Loop: Header=BB0_3 Depth=1
	v_add_nc_u32_e32 v0, s16, v0
	v_cmp_le_i32_e32 vcc_lo, s8, v0
	s_or_b32 s17, vcc_lo, s17
	s_andn2_b32 exec_lo, exec_lo, s17
	s_cbranch_execz .LBB0_11
.LBB0_3:                                ; =>This Loop Header: Depth=1
                                        ;     Child Loop BB0_7 Depth 2
	v_lshl_add_u32 v1, v0, 1, v0
	v_lshlrev_b32_e32 v15, 3, v0
	v_mov_b32_e32 v11, s7
	v_mov_b32_e32 v3, v0
	v_mov_b32_e32 v10, s6
	v_ashrrev_i32_e32 v2, 31, v1
	v_ashrrev_i32_e32 v16, 31, v15
	v_mov_b32_e32 v9, s5
	v_mov_b32_e32 v8, s4
	;; [unrolled: 1-line block ×3, first 2 shown]
	v_lshlrev_b64 v[1:2], 2, v[1:2]
	v_mov_b32_e32 v6, s2
	v_mov_b32_e32 v5, s1
	v_mov_b32_e32 v4, s0
	s_mov_b32 s10, s11
	s_mov_b32 s18, s11
	v_add_co_u32 v1, vcc_lo, s12, v1
	v_add_co_ci_u32_e64 v2, null, s13, v2, vcc_lo
	global_load_dwordx3 v[12:14], v[1:2], off
	v_lshlrev_b64 v[1:2], 2, v[15:16]
	v_add_co_u32 v18, vcc_lo, s14, v1
	v_add_co_ci_u32_e64 v19, null, s15, v2, vcc_lo
	v_mov_b32_e32 v1, v0
	v_mov_b32_e32 v2, v0
	global_store_dwordx4 v[18:19], v[0:3], off
	global_store_dwordx4 v[18:19], v[0:3], off offset:16
	s_branch .LBB0_7
.LBB0_4:                                ;   in Loop: Header=BB0_7 Depth=2
	s_or_b32 exec_lo, exec_lo, s21
.LBB0_5:                                ;   in Loop: Header=BB0_7 Depth=2
	s_or_b32 exec_lo, exec_lo, s20
.LBB0_6:                                ;   in Loop: Header=BB0_7 Depth=2
	s_or_b32 exec_lo, exec_lo, s19
	s_add_i32 s18, s18, 1
	s_add_i32 s10, s10, 3
	s_cmp_eq_u32 s8, s18
	s_cbranch_scc1 .LBB0_2
.LBB0_7:                                ;   Parent Loop BB0_3 Depth=1
                                        ; =>  This Inner Loop Header: Depth=2
	s_mov_b32 s19, exec_lo
	v_cmpx_ne_u32_e64 s18, v0
	s_cbranch_execz .LBB0_6
; %bb.8:                                ;   in Loop: Header=BB0_7 Depth=2
	s_lshl_b64 s[20:21], s[10:11], 2
	s_add_u32 s20, s12, s20
	s_addc_u32 s21, s13, s21
	global_load_dwordx3 v[1:3], v17, s[20:21]
	s_mov_b32 s20, exec_lo
	s_waitcnt vmcnt(0)
	v_sub_nc_u32_e32 v16, v12, v1
	v_sub_nc_u32_e32 v18, v13, v2
	;; [unrolled: 1-line block ×3, first 2 shown]
	v_mul_lo_u32 v16, v16, v16
	v_mul_lo_u32 v18, v18, v18
	;; [unrolled: 1-line block ×3, first 2 shown]
	v_add3_u32 v16, v18, v16, v19
	v_cmpx_ge_i32_e64 s9, v16
	s_cbranch_execz .LBB0_5
; %bb.9:                                ;   in Loop: Header=BB0_7 Depth=2
	v_cmp_lt_i32_e32 vcc_lo, v14, v3
	s_mov_b32 s21, exec_lo
	v_cndmask_b32_e64 v3, 0, 1, vcc_lo
	v_cmp_lt_i32_e32 vcc_lo, v12, v1
	v_cndmask_b32_e64 v1, 0, 4, vcc_lo
	v_cmp_lt_i32_e32 vcc_lo, v13, v2
	v_cndmask_b32_e64 v2, 0, 2, vcc_lo
	v_or3_b32 v1, v2, v1, v3
	v_cmp_eq_u32_e32 vcc_lo, 1, v1
	v_cndmask_b32_e32 v2, v4, v5, vcc_lo
	v_cmp_eq_u32_e32 vcc_lo, 2, v1
	v_cndmask_b32_e32 v2, v2, v6, vcc_lo
	;; [unrolled: 2-line block ×7, first 2 shown]
	v_cmpx_lt_i32_e64 v16, v2
	s_cbranch_execz .LBB0_4
; %bb.10:                               ;   in Loop: Header=BB0_7 Depth=2
	v_cmp_eq_u32_e32 vcc_lo, 7, v1
	v_or_b32_e32 v2, v1, v15
	v_mov_b32_e32 v18, s18
	v_cndmask_b32_e32 v11, v11, v16, vcc_lo
	v_cmp_eq_u32_e32 vcc_lo, 6, v1
	v_ashrrev_i32_e32 v3, 31, v2
	v_cndmask_b32_e32 v10, v10, v16, vcc_lo
	v_cmp_eq_u32_e32 vcc_lo, 5, v1
	v_lshlrev_b64 v[2:3], 2, v[2:3]
	v_cndmask_b32_e32 v9, v9, v16, vcc_lo
	v_cmp_eq_u32_e32 vcc_lo, 4, v1
	v_cndmask_b32_e32 v8, v8, v16, vcc_lo
	v_cmp_eq_u32_e32 vcc_lo, 3, v1
	;; [unrolled: 2-line block ×4, first 2 shown]
	v_cndmask_b32_e32 v5, v5, v16, vcc_lo
	v_add_co_u32 v2, vcc_lo, s14, v2
	v_add_co_ci_u32_e64 v3, null, s15, v3, vcc_lo
	v_cmp_eq_u32_e32 vcc_lo, 0, v1
	global_store_dword v[2:3], v18, off
	v_cndmask_b32_e32 v4, v4, v16, vcc_lo
	s_branch .LBB0_4
.LBB0_11:
	s_endpgm
	.section	.rodata,"a",@progbits
	.p2align	6, 0x0
	.amdhsa_kernel _Z13k_cube_selectiiiPKiPi
		.amdhsa_group_segment_fixed_size 0
		.amdhsa_private_segment_fixed_size 0
		.amdhsa_kernarg_size 288
		.amdhsa_user_sgpr_count 6
		.amdhsa_user_sgpr_private_segment_buffer 1
		.amdhsa_user_sgpr_dispatch_ptr 0
		.amdhsa_user_sgpr_queue_ptr 0
		.amdhsa_user_sgpr_kernarg_segment_ptr 1
		.amdhsa_user_sgpr_dispatch_id 0
		.amdhsa_user_sgpr_flat_scratch_init 0
		.amdhsa_user_sgpr_private_segment_size 0
		.amdhsa_wavefront_size32 1
		.amdhsa_uses_dynamic_stack 0
		.amdhsa_system_sgpr_private_segment_wavefront_offset 0
		.amdhsa_system_sgpr_workgroup_id_x 1
		.amdhsa_system_sgpr_workgroup_id_y 0
		.amdhsa_system_sgpr_workgroup_id_z 0
		.amdhsa_system_sgpr_workgroup_info 0
		.amdhsa_system_vgpr_workitem_id 0
		.amdhsa_next_free_vgpr 20
		.amdhsa_next_free_sgpr 22
		.amdhsa_reserve_vcc 1
		.amdhsa_reserve_flat_scratch 0
		.amdhsa_float_round_mode_32 0
		.amdhsa_float_round_mode_16_64 0
		.amdhsa_float_denorm_mode_32 3
		.amdhsa_float_denorm_mode_16_64 3
		.amdhsa_dx10_clamp 1
		.amdhsa_ieee_mode 1
		.amdhsa_fp16_overflow 0
		.amdhsa_workgroup_processor_mode 1
		.amdhsa_memory_ordered 1
		.amdhsa_forward_progress 1
		.amdhsa_shared_vgpr_count 0
		.amdhsa_exception_fp_ieee_invalid_op 0
		.amdhsa_exception_fp_denorm_src 0
		.amdhsa_exception_fp_ieee_div_zero 0
		.amdhsa_exception_fp_ieee_overflow 0
		.amdhsa_exception_fp_ieee_underflow 0
		.amdhsa_exception_fp_ieee_inexact 0
		.amdhsa_exception_int_div_zero 0
	.end_amdhsa_kernel
	.text
.Lfunc_end0:
	.size	_Z13k_cube_selectiiiPKiPi, .Lfunc_end0-_Z13k_cube_selectiiiPKiPi
                                        ; -- End function
	.set _Z13k_cube_selectiiiPKiPi.num_vgpr, 20
	.set _Z13k_cube_selectiiiPKiPi.num_agpr, 0
	.set _Z13k_cube_selectiiiPKiPi.numbered_sgpr, 22
	.set _Z13k_cube_selectiiiPKiPi.num_named_barrier, 0
	.set _Z13k_cube_selectiiiPKiPi.private_seg_size, 0
	.set _Z13k_cube_selectiiiPKiPi.uses_vcc, 1
	.set _Z13k_cube_selectiiiPKiPi.uses_flat_scratch, 0
	.set _Z13k_cube_selectiiiPKiPi.has_dyn_sized_stack, 0
	.set _Z13k_cube_selectiiiPKiPi.has_recursion, 0
	.set _Z13k_cube_selectiiiPKiPi.has_indirect_call, 0
	.section	.AMDGPU.csdata,"",@progbits
; Kernel info:
; codeLenInByte = 680
; TotalNumSgprs: 24
; NumVgprs: 20
; ScratchSize: 0
; MemoryBound: 0
; FloatMode: 240
; IeeeMode: 1
; LDSByteSize: 0 bytes/workgroup (compile time only)
; SGPRBlocks: 0
; VGPRBlocks: 2
; NumSGPRsForWavesPerEU: 24
; NumVGPRsForWavesPerEU: 20
; Occupancy: 16
; WaveLimiterHint : 0
; COMPUTE_PGM_RSRC2:SCRATCH_EN: 0
; COMPUTE_PGM_RSRC2:USER_SGPR: 6
; COMPUTE_PGM_RSRC2:TRAP_HANDLER: 0
; COMPUTE_PGM_RSRC2:TGID_X_EN: 1
; COMPUTE_PGM_RSRC2:TGID_Y_EN: 0
; COMPUTE_PGM_RSRC2:TGID_Z_EN: 0
; COMPUTE_PGM_RSRC2:TIDIG_COMP_CNT: 0
	.text
	.protected	_Z17k_cube_select_twoiiiPKiPi ; -- Begin function _Z17k_cube_select_twoiiiPKiPi
	.globl	_Z17k_cube_select_twoiiiPKiPi
	.p2align	8
	.type	_Z17k_cube_select_twoiiiPKiPi,@function
_Z17k_cube_select_twoiiiPKiPi:          ; @_Z17k_cube_select_twoiiiPKiPi
; %bb.0:
	s_load_dwordx2 s[16:17], s[4:5], 0x4
	s_mov_b32 s0, exec_lo
	s_waitcnt lgkmcnt(0)
	v_cmpx_gt_i32_e64 s16, v0
	s_cbranch_execz .LBB1_15
; %bb.1:
	s_clause 0x1
	s_load_dwordx4 s[20:23], s[4:5], 0x10
	s_load_dword s24, s[4:5], 0x2c
	s_mul_i32 s14, s16, s6
	v_mov_b32_e32 v26, 0
	s_mul_i32 s12, s14, 3
	s_mov_b32 s0, s17
	s_ashr_i32 s13, s12, 31
	s_mov_b32 s1, s17
	s_lshl_b64 s[12:13], s[12:13], 2
	s_mov_b32 s2, s17
	s_mov_b32 s3, s17
	;; [unrolled: 1-line block ×11, first 2 shown]
	s_waitcnt lgkmcnt(0)
	s_add_u32 s20, s20, s12
	s_addc_u32 s21, s21, s13
	s_lshl_b32 s14, s14, 4
	s_mov_b32 s12, s17
	s_ashr_i32 s15, s14, 31
	s_mov_b32 s13, s17
	s_lshl_b64 s[18:19], s[14:15], 2
	s_mov_b32 s14, s17
	s_add_u32 s22, s22, s18
	s_addc_u32 s23, s23, s19
	s_and_b32 s24, s24, 0xffff
	s_mov_b32 s15, s17
	s_mov_b32 s19, 0
	s_branch .LBB1_3
.LBB1_2:                                ;   in Loop: Header=BB1_3 Depth=1
	v_add_nc_u32_e32 v0, s24, v0
	v_cmp_le_i32_e32 vcc_lo, s16, v0
	s_or_b32 s25, vcc_lo, s25
	s_andn2_b32 exec_lo, exec_lo, s25
	s_cbranch_execz .LBB1_15
.LBB1_3:                                ; =>This Loop Header: Depth=1
                                        ;     Child Loop BB1_8 Depth 2
	v_lshl_add_u32 v1, v0, 1, v0
	v_lshlrev_b32_e32 v23, 4, v0
	v_mov_b32_e32 v19, s15
	v_mov_b32_e32 v3, v0
	;; [unrolled: 1-line block ×3, first 2 shown]
	v_ashrrev_i32_e32 v2, 31, v1
	v_ashrrev_i32_e32 v24, 31, v23
	v_mov_b32_e32 v17, s13
	v_mov_b32_e32 v16, s12
	;; [unrolled: 1-line block ×3, first 2 shown]
	v_lshlrev_b64 v[1:2], 2, v[1:2]
	v_mov_b32_e32 v14, s10
	v_mov_b32_e32 v13, s9
	v_mov_b32_e32 v12, s8
	v_mov_b32_e32 v11, s7
	v_mov_b32_e32 v10, s6
	v_add_co_u32 v1, vcc_lo, s20, v1
	v_add_co_ci_u32_e64 v2, null, s21, v2, vcc_lo
	v_mov_b32_e32 v9, s5
	v_mov_b32_e32 v8, s4
	;; [unrolled: 1-line block ×3, first 2 shown]
	global_load_dwordx3 v[20:22], v[1:2], off
	v_lshlrev_b64 v[1:2], 2, v[23:24]
	v_mov_b32_e32 v6, s2
	v_mov_b32_e32 v5, s1
	;; [unrolled: 1-line block ×3, first 2 shown]
	s_mov_b32 s18, s19
	s_mov_b32 s26, s19
	v_add_co_u32 v24, vcc_lo, s22, v1
	v_add_co_ci_u32_e64 v25, null, s23, v2, vcc_lo
	v_mov_b32_e32 v1, v0
	v_mov_b32_e32 v2, v0
	global_store_dwordx4 v[24:25], v[0:3], off
	global_store_dwordx4 v[24:25], v[0:3], off offset:16
	global_store_dwordx4 v[24:25], v[0:3], off offset:32
	;; [unrolled: 1-line block ×3, first 2 shown]
	s_branch .LBB1_8
.LBB1_4:                                ;   in Loop: Header=BB1_8 Depth=2
	s_or_b32 exec_lo, exec_lo, s30
	v_cmp_eq_u32_e32 vcc_lo, 15, v1
	v_or_b32_e32 v2, v29, v24
	v_mov_b32_e32 v24, s26
	v_cndmask_b32_e32 v19, v19, v27, vcc_lo
	v_cmp_eq_u32_e32 vcc_lo, 14, v1
	v_ashrrev_i32_e32 v3, 31, v2
	v_cndmask_b32_e32 v18, v18, v27, vcc_lo
	v_cmp_eq_u32_e32 vcc_lo, 13, v1
	v_lshlrev_b64 v[2:3], 2, v[2:3]
	v_cndmask_b32_e32 v17, v17, v27, vcc_lo
	v_cmp_eq_u32_e32 vcc_lo, 12, v1
	v_cndmask_b32_e32 v16, v16, v27, vcc_lo
	v_add_co_u32 v2, vcc_lo, s22, v2
	v_add_co_ci_u32_e64 v3, null, s23, v3, vcc_lo
	v_cmp_eq_u32_e32 vcc_lo, 11, v1
	global_store_dword v[2:3], v24, off
	v_cndmask_b32_e32 v15, v15, v27, vcc_lo
	v_cmp_eq_u32_e32 vcc_lo, 10, v1
	v_cndmask_b32_e32 v14, v14, v27, vcc_lo
	v_cmp_eq_u32_e32 vcc_lo, 9, v1
	;; [unrolled: 2-line block ×11, first 2 shown]
	v_cndmask_b32_e32 v4, v4, v27, vcc_lo
.LBB1_5:                                ;   in Loop: Header=BB1_8 Depth=2
	s_or_b32 exec_lo, exec_lo, s29
.LBB1_6:                                ;   in Loop: Header=BB1_8 Depth=2
	s_or_b32 exec_lo, exec_lo, s28
.LBB1_7:                                ;   in Loop: Header=BB1_8 Depth=2
	s_or_b32 exec_lo, exec_lo, s27
	s_add_i32 s26, s26, 1
	s_add_i32 s18, s18, 3
	s_cmp_eq_u32 s16, s26
	s_cbranch_scc1 .LBB1_2
.LBB1_8:                                ;   Parent Loop BB1_3 Depth=1
                                        ; =>  This Inner Loop Header: Depth=2
	s_mov_b32 s27, exec_lo
	v_cmpx_ne_u32_e64 s26, v0
	s_cbranch_execz .LBB1_7
; %bb.9:                                ;   in Loop: Header=BB1_8 Depth=2
	s_lshl_b64 s[28:29], s[18:19], 2
	s_add_u32 s28, s20, s28
	s_addc_u32 s29, s21, s29
	global_load_dwordx3 v[1:3], v26, s[28:29]
	s_mov_b32 s28, exec_lo
	s_waitcnt vmcnt(0)
	v_sub_nc_u32_e32 v24, v20, v1
	v_sub_nc_u32_e32 v25, v21, v2
	;; [unrolled: 1-line block ×3, first 2 shown]
	v_mul_lo_u32 v24, v24, v24
	v_mul_lo_u32 v25, v25, v25
	;; [unrolled: 1-line block ×3, first 2 shown]
	v_add3_u32 v27, v25, v24, v27
	v_cmpx_ge_i32_e64 s17, v27
	s_cbranch_execz .LBB1_6
; %bb.10:                               ;   in Loop: Header=BB1_8 Depth=2
	v_cmp_lt_i32_e32 vcc_lo, v20, v1
	v_mov_b32_e32 v29, 0
	s_mov_b32 s29, exec_lo
	v_cndmask_b32_e64 v1, 0, 8, vcc_lo
	v_cmp_lt_i32_e32 vcc_lo, v21, v2
	v_cndmask_b32_e64 v2, 0, 4, vcc_lo
	v_cmp_lt_i32_e32 vcc_lo, v22, v3
	v_cndmask_b32_e64 v3, 0, 2, vcc_lo
	v_or3_b32 v3, v2, v1, v3
	v_cmp_eq_u32_e32 vcc_lo, 1, v3
	v_cndmask_b32_e32 v1, v4, v5, vcc_lo
	v_cmp_eq_u32_e32 vcc_lo, 2, v3
	v_cndmask_b32_e32 v1, v1, v6, vcc_lo
	;; [unrolled: 2-line block ×15, first 2 shown]
	v_mov_b32_e32 v1, v3
	v_mov_b32_e32 v2, v4
	v_cmp_lt_i32_e64 s31, v27, v28
	s_mov_b32 s30, s31
	v_cmpx_ge_i32_e64 v27, v28
	s_cbranch_execz .LBB1_12
; %bb.11:                               ;   in Loop: Header=BB1_8 Depth=2
	v_or_b32_e32 v1, 1, v3
	s_andn2_b32 s30, s31, exec_lo
	v_mov_b32_e32 v29, 1
	v_cmp_eq_u32_e32 vcc_lo, 1, v1
	v_cndmask_b32_e32 v2, v4, v5, vcc_lo
	v_cmp_eq_u32_e32 vcc_lo, 2, v1
	v_cndmask_b32_e32 v2, v2, v6, vcc_lo
	;; [unrolled: 2-line block ×15, first 2 shown]
	v_cmp_lt_i32_e32 vcc_lo, v27, v2
	s_and_b32 s33, vcc_lo, exec_lo
	s_or_b32 s30, s30, s33
.LBB1_12:                               ;   in Loop: Header=BB1_8 Depth=2
	s_or_b32 exec_lo, exec_lo, s29
	s_and_saveexec_b32 s29, s30
	s_cbranch_execz .LBB1_5
; %bb.13:                               ;   in Loop: Header=BB1_8 Depth=2
	v_or_b32_e32 v24, v3, v23
	s_and_saveexec_b32 s30, s31
	s_cbranch_execz .LBB1_4
; %bb.14:                               ;   in Loop: Header=BB1_8 Depth=2
	v_ashrrev_i32_e32 v25, 31, v24
	v_or_b32_e32 v3, 1, v3
	v_lshlrev_b64 v[30:31], 2, v[24:25]
	v_add_co_u32 v30, vcc_lo, s22, v30
	v_add_co_ci_u32_e64 v31, null, s23, v31, vcc_lo
	v_cmp_eq_u32_e32 vcc_lo, 15, v3
	global_load_dword v2, v[30:31], off
	v_cndmask_b32_e32 v19, v19, v28, vcc_lo
	v_cmp_eq_u32_e32 vcc_lo, 14, v3
	v_cndmask_b32_e32 v18, v18, v28, vcc_lo
	v_cmp_eq_u32_e32 vcc_lo, 13, v3
	;; [unrolled: 2-line block ×15, first 2 shown]
	v_cndmask_b32_e32 v4, v4, v28, vcc_lo
	s_waitcnt vmcnt(0)
	global_store_dword v[30:31], v2, off offset:4
	s_branch .LBB1_4
.LBB1_15:
	s_endpgm
	.section	.rodata,"a",@progbits
	.p2align	6, 0x0
	.amdhsa_kernel _Z17k_cube_select_twoiiiPKiPi
		.amdhsa_group_segment_fixed_size 0
		.amdhsa_private_segment_fixed_size 0
		.amdhsa_kernarg_size 288
		.amdhsa_user_sgpr_count 6
		.amdhsa_user_sgpr_private_segment_buffer 1
		.amdhsa_user_sgpr_dispatch_ptr 0
		.amdhsa_user_sgpr_queue_ptr 0
		.amdhsa_user_sgpr_kernarg_segment_ptr 1
		.amdhsa_user_sgpr_dispatch_id 0
		.amdhsa_user_sgpr_flat_scratch_init 0
		.amdhsa_user_sgpr_private_segment_size 0
		.amdhsa_wavefront_size32 1
		.amdhsa_uses_dynamic_stack 0
		.amdhsa_system_sgpr_private_segment_wavefront_offset 0
		.amdhsa_system_sgpr_workgroup_id_x 1
		.amdhsa_system_sgpr_workgroup_id_y 0
		.amdhsa_system_sgpr_workgroup_id_z 0
		.amdhsa_system_sgpr_workgroup_info 0
		.amdhsa_system_vgpr_workitem_id 0
		.amdhsa_next_free_vgpr 32
		.amdhsa_next_free_sgpr 34
		.amdhsa_reserve_vcc 1
		.amdhsa_reserve_flat_scratch 0
		.amdhsa_float_round_mode_32 0
		.amdhsa_float_round_mode_16_64 0
		.amdhsa_float_denorm_mode_32 3
		.amdhsa_float_denorm_mode_16_64 3
		.amdhsa_dx10_clamp 1
		.amdhsa_ieee_mode 1
		.amdhsa_fp16_overflow 0
		.amdhsa_workgroup_processor_mode 1
		.amdhsa_memory_ordered 1
		.amdhsa_forward_progress 1
		.amdhsa_shared_vgpr_count 0
		.amdhsa_exception_fp_ieee_invalid_op 0
		.amdhsa_exception_fp_denorm_src 0
		.amdhsa_exception_fp_ieee_div_zero 0
		.amdhsa_exception_fp_ieee_overflow 0
		.amdhsa_exception_fp_ieee_underflow 0
		.amdhsa_exception_fp_ieee_inexact 0
		.amdhsa_exception_int_div_zero 0
	.end_amdhsa_kernel
	.text
.Lfunc_end1:
	.size	_Z17k_cube_select_twoiiiPKiPi, .Lfunc_end1-_Z17k_cube_select_twoiiiPKiPi
                                        ; -- End function
	.set _Z17k_cube_select_twoiiiPKiPi.num_vgpr, 32
	.set _Z17k_cube_select_twoiiiPKiPi.num_agpr, 0
	.set _Z17k_cube_select_twoiiiPKiPi.numbered_sgpr, 34
	.set _Z17k_cube_select_twoiiiPKiPi.num_named_barrier, 0
	.set _Z17k_cube_select_twoiiiPKiPi.private_seg_size, 0
	.set _Z17k_cube_select_twoiiiPKiPi.uses_vcc, 1
	.set _Z17k_cube_select_twoiiiPKiPi.uses_flat_scratch, 0
	.set _Z17k_cube_select_twoiiiPKiPi.has_dyn_sized_stack, 0
	.set _Z17k_cube_select_twoiiiPKiPi.has_recursion, 0
	.set _Z17k_cube_select_twoiiiPKiPi.has_indirect_call, 0
	.section	.AMDGPU.csdata,"",@progbits
; Kernel info:
; codeLenInByte = 1264
; TotalNumSgprs: 36
; NumVgprs: 32
; ScratchSize: 0
; MemoryBound: 0
; FloatMode: 240
; IeeeMode: 1
; LDSByteSize: 0 bytes/workgroup (compile time only)
; SGPRBlocks: 0
; VGPRBlocks: 3
; NumSGPRsForWavesPerEU: 36
; NumVGPRsForWavesPerEU: 32
; Occupancy: 16
; WaveLimiterHint : 0
; COMPUTE_PGM_RSRC2:SCRATCH_EN: 0
; COMPUTE_PGM_RSRC2:USER_SGPR: 6
; COMPUTE_PGM_RSRC2:TRAP_HANDLER: 0
; COMPUTE_PGM_RSRC2:TGID_X_EN: 1
; COMPUTE_PGM_RSRC2:TGID_Y_EN: 0
; COMPUTE_PGM_RSRC2:TGID_Z_EN: 0
; COMPUTE_PGM_RSRC2:TIDIG_COMP_CNT: 0
	.text
	.protected	_Z18k_cube_select_fouriiiPKiPi ; -- Begin function _Z18k_cube_select_fouriiiPKiPi
	.globl	_Z18k_cube_select_fouriiiPKiPi
	.p2align	8
	.type	_Z18k_cube_select_fouriiiPKiPi,@function
_Z18k_cube_select_fouriiiPKiPi:         ; @_Z18k_cube_select_fouriiiPKiPi
; %bb.0:
	s_load_dwordx2 s[34:35], s[4:5], 0x4
	s_mov_b32 s0, exec_lo
	s_waitcnt lgkmcnt(0)
	v_cmpx_gt_i32_e64 s34, v0
	s_cbranch_execz .LBB2_21
; %bb.1:
	s_clause 0x1
	s_load_dwordx4 s[0:3], s[4:5], 0x10
	s_load_dword s7, s[4:5], 0x2c
	s_mul_i32 s6, s34, s6
	v_mov_b32_e32 v39, 0
	s_mul_i32 s4, s6, 3
	v_lshlrev_b32_e32 v38, 5, v0
	s_ashr_i32 s5, s4, 31
	s_mov_b32 s36, s35
	s_lshl_b64 s[4:5], s[4:5], 2
	v_mov_b32_e32 v41, v39
	v_mov_b32_e32 v40, v38
	s_mov_b32 s37, s35
	s_mov_b32 s38, s35
	;; [unrolled: 1-line block ×9, first 2 shown]
	s_waitcnt lgkmcnt(0)
	s_add_u32 s33, s0, s4
	s_addc_u32 s74, s1, s5
	s_lshl_b32 s0, s6, 5
	s_mov_b32 s46, s35
	s_ashr_i32 s1, s0, 31
	s_mov_b32 s47, s35
	s_lshl_b64 s[0:1], s[0:1], 2
	s_mov_b32 s48, s35
	s_add_u32 s75, s2, s0
	s_addc_u32 s76, s3, s1
	s_and_b32 s77, s7, 0xffff
	s_mov_b32 s49, s35
	s_mov_b32 s50, s35
	;; [unrolled: 1-line block ×20, first 2 shown]
	s_lshl_b32 s78, s77, 5
	s_mov_b32 s79, 0
	s_branch .LBB2_3
.LBB2_2:                                ;   in Loop: Header=BB2_3 Depth=1
	v_add_nc_u32_e32 v0, s77, v0
	v_add_co_u32 v40, s0, v40, s78
	v_add_co_ci_u32_e64 v41, null, 0, v41, s0
	v_cmp_le_i32_e32 vcc_lo, s34, v0
	s_or_b32 s79, vcc_lo, s79
	s_andn2_b32 exec_lo, exec_lo, s79
	s_cbranch_execz .LBB2_21
.LBB2_3:                                ; =>This Loop Header: Depth=1
                                        ;     Child Loop BB2_8 Depth 2
                                        ;       Child Loop BB2_19 Depth 3
	v_lshl_add_u32 v1, v0, 1, v0
	v_lshlrev_b32_e32 v42, 5, v0
	v_mov_b32_e32 v4, s36
	v_mov_b32_e32 v3, v0
	v_mov_b32_e32 v5, s37
	v_ashrrev_i32_e32 v2, 31, v1
	v_ashrrev_i32_e32 v43, 31, v42
	v_mov_b32_e32 v6, s38
	v_mov_b32_e32 v7, s39
	v_mov_b32_e32 v8, s40
	v_lshlrev_b64 v[1:2], 2, v[1:2]
	v_mov_b32_e32 v9, s41
	v_mov_b32_e32 v10, s42
	;; [unrolled: 1-line block ×5, first 2 shown]
	v_add_co_u32 v1, vcc_lo, s33, v1
	v_add_co_ci_u32_e64 v2, null, s74, v2, vcc_lo
	v_mov_b32_e32 v14, s46
	v_mov_b32_e32 v15, s47
	;; [unrolled: 1-line block ×3, first 2 shown]
	global_load_dwordx3 v[36:38], v[1:2], off
	v_lshlrev_b64 v[1:2], 2, v[42:43]
	v_mov_b32_e32 v17, s49
	v_mov_b32_e32 v18, s50
	;; [unrolled: 1-line block ×5, first 2 shown]
	v_add_co_u32 v43, vcc_lo, s75, v1
	v_add_co_ci_u32_e64 v44, null, s76, v2, vcc_lo
	v_mov_b32_e32 v1, v0
	v_mov_b32_e32 v2, v0
	;; [unrolled: 1-line block ×16, first 2 shown]
	s_mov_b32 s80, s69
	global_store_dwordx4 v[43:44], v[0:3], off
	global_store_dwordx4 v[43:44], v[0:3], off offset:16
	global_store_dwordx4 v[43:44], v[0:3], off offset:32
	;; [unrolled: 1-line block ×7, first 2 shown]
	s_branch .LBB2_8
.LBB2_4:                                ;   in Loop: Header=BB2_8 Depth=2
	s_or_b32 exec_lo, exec_lo, s83
	v_cmp_eq_u32_e32 vcc_lo, 31, v1
	v_or3_b32 v2, v3, v42, v50
	v_mov_b32_e32 v43, s80
	v_cndmask_b32_e32 v35, v35, v49, vcc_lo
	v_cmp_eq_u32_e32 vcc_lo, 30, v1
	v_ashrrev_i32_e32 v3, 31, v2
	v_cndmask_b32_e32 v34, v34, v49, vcc_lo
	v_cmp_eq_u32_e32 vcc_lo, 29, v1
	v_lshlrev_b64 v[2:3], 2, v[2:3]
	v_cndmask_b32_e32 v33, v33, v49, vcc_lo
	v_cmp_eq_u32_e32 vcc_lo, 28, v1
	v_cndmask_b32_e32 v32, v32, v49, vcc_lo
	v_add_co_u32 v2, vcc_lo, s75, v2
	v_add_co_ci_u32_e64 v3, null, s76, v3, vcc_lo
	v_cmp_eq_u32_e32 vcc_lo, 27, v1
	global_store_dword v[2:3], v43, off
	v_cndmask_b32_e32 v31, v31, v49, vcc_lo
	v_cmp_eq_u32_e32 vcc_lo, 26, v1
	v_cndmask_b32_e32 v30, v30, v49, vcc_lo
	v_cmp_eq_u32_e32 vcc_lo, 25, v1
	;; [unrolled: 2-line block ×27, first 2 shown]
	v_cndmask_b32_e32 v4, v4, v49, vcc_lo
.LBB2_5:                                ;   in Loop: Header=BB2_8 Depth=2
	s_or_b32 exec_lo, exec_lo, s82
.LBB2_6:                                ;   in Loop: Header=BB2_8 Depth=2
	s_or_b32 exec_lo, exec_lo, s68
.LBB2_7:                                ;   in Loop: Header=BB2_8 Depth=2
	s_or_b32 exec_lo, exec_lo, s81
	s_add_i32 s80, s80, 1
	s_cmp_eq_u32 s80, s34
	s_cbranch_scc1 .LBB2_2
.LBB2_8:                                ;   Parent Loop BB2_3 Depth=1
                                        ; =>  This Loop Header: Depth=2
                                        ;       Child Loop BB2_19 Depth 3
	s_mov_b32 s81, exec_lo
	v_cmpx_ne_u32_e64 s80, v0
	s_cbranch_execz .LBB2_7
; %bb.9:                                ;   in Loop: Header=BB2_8 Depth=2
	s_mul_i32 s68, s80, 3
	s_lshl_b64 s[0:1], s[68:69], 2
	s_mov_b32 s68, exec_lo
	s_add_u32 s0, s33, s0
	s_addc_u32 s1, s74, s1
	global_load_dwordx3 v[1:3], v39, s[0:1]
	s_waitcnt vmcnt(0)
	v_sub_nc_u32_e32 v43, v36, v1
	v_sub_nc_u32_e32 v44, v37, v2
	;; [unrolled: 1-line block ×3, first 2 shown]
	v_mul_lo_u32 v43, v43, v43
	v_mul_lo_u32 v44, v44, v44
	;; [unrolled: 1-line block ×3, first 2 shown]
	v_add3_u32 v49, v44, v43, v45
	v_cmpx_ge_i32_e64 s35, v49
	s_cbranch_execz .LBB2_6
; %bb.10:                               ;   in Loop: Header=BB2_8 Depth=2
	v_cmp_lt_i32_e32 vcc_lo, v36, v1
	v_mov_b32_e32 v50, 0
	s_mov_b32 s1, -1
	v_cndmask_b32_e64 v43, 0, 16, vcc_lo
	v_cmp_lt_i32_e32 vcc_lo, v37, v2
	v_cndmask_b32_e64 v44, 0, 8, vcc_lo
	v_cmp_lt_i32_e32 vcc_lo, v38, v3
	v_cndmask_b32_e64 v45, 0, 4, vcc_lo
	v_or3_b32 v3, v44, v43, v45
	v_cmp_eq_u32_e32 vcc_lo, 1, v3
	v_cndmask_b32_e32 v1, v4, v5, vcc_lo
	v_cmp_eq_u32_e32 vcc_lo, 2, v3
	v_cndmask_b32_e32 v1, v1, v6, vcc_lo
	v_cmp_eq_u32_e32 vcc_lo, 3, v3
	v_cndmask_b32_e32 v1, v1, v7, vcc_lo
	v_cmp_eq_u32_e32 vcc_lo, 4, v3
	v_cndmask_b32_e32 v1, v1, v8, vcc_lo
	v_cmp_eq_u32_e32 vcc_lo, 5, v3
	v_cndmask_b32_e32 v1, v1, v9, vcc_lo
	v_cmp_eq_u32_e32 vcc_lo, 6, v3
	v_cndmask_b32_e32 v1, v1, v10, vcc_lo
	v_cmp_eq_u32_e32 vcc_lo, 7, v3
	v_cndmask_b32_e32 v1, v1, v11, vcc_lo
	v_cmp_eq_u32_e32 vcc_lo, 8, v3
	v_cndmask_b32_e32 v1, v1, v12, vcc_lo
	v_cmp_eq_u32_e32 vcc_lo, 9, v3
	v_cndmask_b32_e32 v1, v1, v13, vcc_lo
	v_cmp_eq_u32_e32 vcc_lo, 10, v3
	v_cndmask_b32_e32 v1, v1, v14, vcc_lo
	v_cmp_eq_u32_e32 vcc_lo, 11, v3
	v_cndmask_b32_e32 v1, v1, v15, vcc_lo
	v_cmp_eq_u32_e32 vcc_lo, 12, v3
	v_cndmask_b32_e32 v1, v1, v16, vcc_lo
	v_cmp_eq_u32_e32 vcc_lo, 13, v3
	v_cndmask_b32_e32 v1, v1, v17, vcc_lo
	v_cmp_eq_u32_e32 vcc_lo, 14, v3
	v_cndmask_b32_e32 v1, v1, v18, vcc_lo
	v_cmp_eq_u32_e32 vcc_lo, 15, v3
	v_cndmask_b32_e32 v1, v1, v19, vcc_lo
	v_cmp_eq_u32_e32 vcc_lo, 16, v3
	v_cndmask_b32_e32 v1, v1, v20, vcc_lo
	v_cmp_eq_u32_e32 vcc_lo, 17, v3
	v_cndmask_b32_e32 v1, v1, v21, vcc_lo
	v_cmp_eq_u32_e32 vcc_lo, 18, v3
	v_cndmask_b32_e32 v1, v1, v22, vcc_lo
	v_cmp_eq_u32_e32 vcc_lo, 19, v3
	v_cndmask_b32_e32 v1, v1, v23, vcc_lo
	v_cmp_eq_u32_e32 vcc_lo, 20, v3
	v_cndmask_b32_e32 v1, v1, v24, vcc_lo
	v_cmp_eq_u32_e32 vcc_lo, 21, v3
	v_cndmask_b32_e32 v1, v1, v25, vcc_lo
	v_cmp_eq_u32_e32 vcc_lo, 22, v3
	v_cndmask_b32_e32 v1, v1, v26, vcc_lo
	v_cmp_eq_u32_e32 vcc_lo, 23, v3
	v_cndmask_b32_e32 v1, v1, v27, vcc_lo
	v_cmp_eq_u32_e32 vcc_lo, 24, v3
	v_cndmask_b32_e32 v1, v1, v28, vcc_lo
	v_cmp_eq_u32_e32 vcc_lo, 25, v3
	v_cndmask_b32_e32 v1, v1, v29, vcc_lo
	v_cmp_eq_u32_e32 vcc_lo, 26, v3
	v_cndmask_b32_e32 v1, v1, v30, vcc_lo
	v_cmp_eq_u32_e32 vcc_lo, 27, v3
	v_cndmask_b32_e32 v1, v1, v31, vcc_lo
	v_cmp_eq_u32_e32 vcc_lo, 28, v3
	v_cndmask_b32_e32 v1, v1, v32, vcc_lo
	v_cmp_eq_u32_e32 vcc_lo, 29, v3
	v_cndmask_b32_e32 v1, v1, v33, vcc_lo
	v_cmp_eq_u32_e32 vcc_lo, 30, v3
	v_cndmask_b32_e32 v1, v1, v34, vcc_lo
	v_cmp_eq_u32_e32 vcc_lo, 31, v3
	v_cndmask_b32_e32 v1, v1, v35, vcc_lo
	v_cmp_lt_i32_e32 vcc_lo, v49, v1
	v_cmp_ge_i32_e64 s0, v49, v1
	v_mov_b32_e32 v1, v3
	v_mov_b32_e32 v2, v4
	s_and_saveexec_b32 s2, s0
	s_cbranch_execz .LBB2_16
; %bb.11:                               ;   in Loop: Header=BB2_8 Depth=2
	v_or_b32_e32 v1, 1, v3
	v_mov_b32_e32 v50, 1
	s_mov_b32 s4, -1
	s_mov_b32 s3, exec_lo
	v_cmp_eq_u32_e64 s0, 1, v1
	v_cndmask_b32_e64 v2, v4, v5, s0
	v_cmp_eq_u32_e64 s0, 2, v1
	v_cndmask_b32_e64 v2, v2, v6, s0
	;; [unrolled: 2-line block ×31, first 2 shown]
	v_cmp_lt_i32_e64 s0, v49, v2
	v_cmpx_ge_i32_e64 v49, v2
	s_cbranch_execz .LBB2_15
; %bb.12:                               ;   in Loop: Header=BB2_8 Depth=2
	v_or_b32_e32 v1, 2, v3
	v_mov_b32_e32 v50, 2
	s_mov_b32 s6, -1
	s_mov_b32 s5, exec_lo
	v_cmp_eq_u32_e64 s1, 1, v1
	v_cndmask_b32_e64 v2, v4, v5, s1
	v_cmp_eq_u32_e64 s1, 2, v1
	v_cndmask_b32_e64 v2, v2, v6, s1
	;; [unrolled: 2-line block ×31, first 2 shown]
	v_cmp_lt_i32_e64 s4, v49, v2
	v_cmpx_ge_i32_e64 v49, v2
	s_xor_b32 s5, exec_lo, s5
	s_cbranch_execz .LBB2_14
; %bb.13:                               ;   in Loop: Header=BB2_8 Depth=2
	v_or_b32_e32 v1, 3, v3
	v_mov_b32_e32 v50, 3
	s_andn2_b32 s4, s4, exec_lo
	s_xor_b32 s6, exec_lo, -1
	v_cmp_eq_u32_e64 s1, 1, v1
	v_cndmask_b32_e64 v2, v4, v5, s1
	v_cmp_eq_u32_e64 s1, 2, v1
	v_cndmask_b32_e64 v2, v2, v6, s1
	;; [unrolled: 2-line block ×31, first 2 shown]
	v_cmp_lt_i32_e64 s1, v49, v2
	s_and_b32 s1, s1, exec_lo
	s_or_b32 s4, s4, s1
.LBB2_14:                               ;   in Loop: Header=BB2_8 Depth=2
	s_or_b32 exec_lo, exec_lo, s5
	s_andn2_b32 s0, s0, exec_lo
	s_and_b32 s1, s4, exec_lo
	s_orn2_b32 s4, s6, exec_lo
	s_or_b32 s0, s0, s1
.LBB2_15:                               ;   in Loop: Header=BB2_8 Depth=2
	s_or_b32 exec_lo, exec_lo, s3
	s_andn2_b32 s3, vcc_lo, exec_lo
	s_and_b32 s0, s0, exec_lo
	s_orn2_b32 s1, s4, exec_lo
	s_or_b32 vcc_lo, s3, s0
.LBB2_16:                               ;   in Loop: Header=BB2_8 Depth=2
	s_or_b32 exec_lo, exec_lo, s2
	s_and_saveexec_b32 s0, vcc_lo
	s_xor_b32 s82, exec_lo, s0
	s_cbranch_execz .LBB2_5
; %bb.17:                               ;   in Loop: Header=BB2_8 Depth=2
	s_and_saveexec_b32 s83, s1
	s_cbranch_execz .LBB2_4
; %bb.18:                               ;   in Loop: Header=BB2_8 Depth=2
	v_add3_u32 v2, v44, v43, v45
	s_mov_b64 s[70:71], 2
	s_mov_b32 s84, 0
	v_add_co_u32 v43, s0, v2, 3
	v_add_co_ci_u32_e64 v44, null, 0, 0, s0
.LBB2_19:                               ;   Parent Loop BB2_3 Depth=1
                                        ;     Parent Loop BB2_8 Depth=2
                                        ; =>    This Inner Loop Header: Depth=3
	v_add_nc_u32_e32 v45, v40, v43
	v_cmp_eq_u32_e64 s1, 30, v43
	v_cmp_eq_u32_e64 s2, 29, v43
	;; [unrolled: 1-line block ×4, first 2 shown]
	v_ashrrev_i32_e32 v46, 31, v45
	v_cmp_eq_u32_e64 s5, 26, v43
	v_cmp_eq_u32_e64 s6, 25, v43
	;; [unrolled: 1-line block ×4, first 2 shown]
	v_lshlrev_b64 v[45:46], 2, v[45:46]
	v_cmp_eq_u32_e64 s9, 22, v43
	v_cmp_eq_u32_e64 s10, 21, v43
	;; [unrolled: 1-line block ×5, first 2 shown]
	v_add_co_u32 v45, vcc_lo, s75, v45
	v_add_co_ci_u32_e64 v46, null, s76, v46, vcc_lo
	v_add_co_u32 v47, vcc_lo, v43, -1
	v_add_co_ci_u32_e64 v48, null, -1, v44, vcc_lo
	global_load_dword v2, v[45:46], off offset:-4
	v_cmp_eq_u32_e64 s0, 1, v47
	v_cmp_eq_u32_e64 s14, 17, v43
	v_cmp_eq_u32_e64 s15, 16, v43
	v_cmp_eq_u32_e64 s16, 15, v43
	v_cmp_eq_u32_e64 s17, 14, v43
	v_cndmask_b32_e64 v44, v4, v5, s0
	v_cmp_eq_u32_e64 s0, 2, v47
	v_cmp_eq_u32_e64 s18, 13, v43
	v_cmp_eq_u32_e64 s19, 12, v43
	v_cmp_eq_u32_e64 s20, 11, v43
	v_cmp_eq_u32_e64 s21, 10, v43
	v_cndmask_b32_e64 v44, v44, v6, s0
	;; [unrolled: 6-line block ×4, first 2 shown]
	v_cmp_eq_u32_e64 s0, 5, v47
	v_cmp_eq_u32_e64 s30, 1, v43
	;; [unrolled: 1-line block ×3, first 2 shown]
	v_cmp_le_u32_e32 vcc_lo, s70, v50
	s_add_u32 s72, s70, -1
	v_cndmask_b32_e64 v44, v44, v9, s0
	v_cmp_eq_u32_e64 s0, 6, v47
	s_addc_u32 s73, s71, -1
	s_or_b32 s84, vcc_lo, s84
	s_mov_b64 s[70:71], s[72:73]
	v_cndmask_b32_e64 v44, v44, v10, s0
	v_cmp_eq_u32_e64 s0, 7, v47
	v_cndmask_b32_e64 v44, v44, v11, s0
	v_cmp_eq_u32_e64 s0, 8, v47
	;; [unrolled: 2-line block ×26, first 2 shown]
	v_mov_b32_e32 v43, v47
	v_mov_b32_e32 v44, v48
	v_cndmask_b32_e64 v34, v34, v51, s1
	v_cndmask_b32_e64 v35, v35, v51, s0
	;; [unrolled: 1-line block ×32, first 2 shown]
	s_waitcnt vmcnt(0)
	global_store_dword v[45:46], v2, off
	s_andn2_b32 exec_lo, exec_lo, s84
	s_cbranch_execnz .LBB2_19
; %bb.20:                               ;   in Loop: Header=BB2_8 Depth=2
	s_or_b32 exec_lo, exec_lo, s84
	s_branch .LBB2_4
.LBB2_21:
	s_endpgm
	.section	.rodata,"a",@progbits
	.p2align	6, 0x0
	.amdhsa_kernel _Z18k_cube_select_fouriiiPKiPi
		.amdhsa_group_segment_fixed_size 0
		.amdhsa_private_segment_fixed_size 0
		.amdhsa_kernarg_size 288
		.amdhsa_user_sgpr_count 6
		.amdhsa_user_sgpr_private_segment_buffer 1
		.amdhsa_user_sgpr_dispatch_ptr 0
		.amdhsa_user_sgpr_queue_ptr 0
		.amdhsa_user_sgpr_kernarg_segment_ptr 1
		.amdhsa_user_sgpr_dispatch_id 0
		.amdhsa_user_sgpr_flat_scratch_init 0
		.amdhsa_user_sgpr_private_segment_size 0
		.amdhsa_wavefront_size32 1
		.amdhsa_uses_dynamic_stack 0
		.amdhsa_system_sgpr_private_segment_wavefront_offset 0
		.amdhsa_system_sgpr_workgroup_id_x 1
		.amdhsa_system_sgpr_workgroup_id_y 0
		.amdhsa_system_sgpr_workgroup_id_z 0
		.amdhsa_system_sgpr_workgroup_info 0
		.amdhsa_system_vgpr_workitem_id 0
		.amdhsa_next_free_vgpr 52
		.amdhsa_next_free_sgpr 85
		.amdhsa_reserve_vcc 1
		.amdhsa_reserve_flat_scratch 0
		.amdhsa_float_round_mode_32 0
		.amdhsa_float_round_mode_16_64 0
		.amdhsa_float_denorm_mode_32 3
		.amdhsa_float_denorm_mode_16_64 3
		.amdhsa_dx10_clamp 1
		.amdhsa_ieee_mode 1
		.amdhsa_fp16_overflow 0
		.amdhsa_workgroup_processor_mode 1
		.amdhsa_memory_ordered 1
		.amdhsa_forward_progress 1
		.amdhsa_shared_vgpr_count 0
		.amdhsa_exception_fp_ieee_invalid_op 0
		.amdhsa_exception_fp_denorm_src 0
		.amdhsa_exception_fp_ieee_div_zero 0
		.amdhsa_exception_fp_ieee_overflow 0
		.amdhsa_exception_fp_ieee_underflow 0
		.amdhsa_exception_fp_ieee_inexact 0
		.amdhsa_exception_int_div_zero 0
	.end_amdhsa_kernel
	.text
.Lfunc_end2:
	.size	_Z18k_cube_select_fouriiiPKiPi, .Lfunc_end2-_Z18k_cube_select_fouriiiPKiPi
                                        ; -- End function
	.set _Z18k_cube_select_fouriiiPKiPi.num_vgpr, 52
	.set _Z18k_cube_select_fouriiiPKiPi.num_agpr, 0
	.set _Z18k_cube_select_fouriiiPKiPi.numbered_sgpr, 85
	.set _Z18k_cube_select_fouriiiPKiPi.num_named_barrier, 0
	.set _Z18k_cube_select_fouriiiPKiPi.private_seg_size, 0
	.set _Z18k_cube_select_fouriiiPKiPi.uses_vcc, 1
	.set _Z18k_cube_select_fouriiiPKiPi.uses_flat_scratch, 0
	.set _Z18k_cube_select_fouriiiPKiPi.has_dyn_sized_stack, 0
	.set _Z18k_cube_select_fouriiiPKiPi.has_recursion, 0
	.set _Z18k_cube_select_fouriiiPKiPi.has_indirect_call, 0
	.section	.AMDGPU.csdata,"",@progbits
; Kernel info:
; codeLenInByte = 4168
; TotalNumSgprs: 87
; NumVgprs: 52
; ScratchSize: 0
; MemoryBound: 0
; FloatMode: 240
; IeeeMode: 1
; LDSByteSize: 0 bytes/workgroup (compile time only)
; SGPRBlocks: 0
; VGPRBlocks: 6
; NumSGPRsForWavesPerEU: 87
; NumVGPRsForWavesPerEU: 52
; Occupancy: 16
; WaveLimiterHint : 0
; COMPUTE_PGM_RSRC2:SCRATCH_EN: 0
; COMPUTE_PGM_RSRC2:USER_SGPR: 6
; COMPUTE_PGM_RSRC2:TRAP_HANDLER: 0
; COMPUTE_PGM_RSRC2:TGID_X_EN: 1
; COMPUTE_PGM_RSRC2:TGID_Y_EN: 0
; COMPUTE_PGM_RSRC2:TGID_Z_EN: 0
; COMPUTE_PGM_RSRC2:TIDIG_COMP_CNT: 0
	.text
	.p2alignl 6, 3214868480
	.fill 48, 4, 3214868480
	.section	.AMDGPU.gpr_maximums,"",@progbits
	.set amdgpu.max_num_vgpr, 0
	.set amdgpu.max_num_agpr, 0
	.set amdgpu.max_num_sgpr, 0
	.text
	.type	__hip_cuid_c9a190a5b837e065,@object ; @__hip_cuid_c9a190a5b837e065
	.section	.bss,"aw",@nobits
	.globl	__hip_cuid_c9a190a5b837e065
__hip_cuid_c9a190a5b837e065:
	.byte	0                               ; 0x0
	.size	__hip_cuid_c9a190a5b837e065, 1

	.ident	"AMD clang version 22.0.0git (https://github.com/RadeonOpenCompute/llvm-project roc-7.2.4 26084 f58b06dce1f9c15707c5f808fd002e18c2accf7e)"
	.section	".note.GNU-stack","",@progbits
	.addrsig
	.addrsig_sym __hip_cuid_c9a190a5b837e065
	.amdgpu_metadata
---
amdhsa.kernels:
  - .args:
      - .offset:         0
        .size:           4
        .value_kind:     by_value
      - .offset:         4
        .size:           4
        .value_kind:     by_value
      - .offset:         8
        .size:           4
        .value_kind:     by_value
      - .address_space:  global
        .offset:         16
        .size:           8
        .value_kind:     global_buffer
      - .address_space:  global
        .offset:         24
        .size:           8
        .value_kind:     global_buffer
      - .offset:         32
        .size:           4
        .value_kind:     hidden_block_count_x
      - .offset:         36
        .size:           4
        .value_kind:     hidden_block_count_y
      - .offset:         40
        .size:           4
        .value_kind:     hidden_block_count_z
      - .offset:         44
        .size:           2
        .value_kind:     hidden_group_size_x
      - .offset:         46
        .size:           2
        .value_kind:     hidden_group_size_y
      - .offset:         48
        .size:           2
        .value_kind:     hidden_group_size_z
      - .offset:         50
        .size:           2
        .value_kind:     hidden_remainder_x
      - .offset:         52
        .size:           2
        .value_kind:     hidden_remainder_y
      - .offset:         54
        .size:           2
        .value_kind:     hidden_remainder_z
      - .offset:         72
        .size:           8
        .value_kind:     hidden_global_offset_x
      - .offset:         80
        .size:           8
        .value_kind:     hidden_global_offset_y
      - .offset:         88
        .size:           8
        .value_kind:     hidden_global_offset_z
      - .offset:         96
        .size:           2
        .value_kind:     hidden_grid_dims
    .group_segment_fixed_size: 0
    .kernarg_segment_align: 8
    .kernarg_segment_size: 288
    .language:       OpenCL C
    .language_version:
      - 2
      - 0
    .max_flat_workgroup_size: 1024
    .name:           _Z13k_cube_selectiiiPKiPi
    .private_segment_fixed_size: 0
    .sgpr_count:     24
    .sgpr_spill_count: 0
    .symbol:         _Z13k_cube_selectiiiPKiPi.kd
    .uniform_work_group_size: 1
    .uses_dynamic_stack: false
    .vgpr_count:     20
    .vgpr_spill_count: 0
    .wavefront_size: 32
    .workgroup_processor_mode: 1
  - .args:
      - .offset:         0
        .size:           4
        .value_kind:     by_value
      - .offset:         4
        .size:           4
        .value_kind:     by_value
      - .offset:         8
        .size:           4
        .value_kind:     by_value
      - .address_space:  global
        .offset:         16
        .size:           8
        .value_kind:     global_buffer
      - .address_space:  global
        .offset:         24
        .size:           8
        .value_kind:     global_buffer
      - .offset:         32
        .size:           4
        .value_kind:     hidden_block_count_x
      - .offset:         36
        .size:           4
        .value_kind:     hidden_block_count_y
      - .offset:         40
        .size:           4
        .value_kind:     hidden_block_count_z
      - .offset:         44
        .size:           2
        .value_kind:     hidden_group_size_x
      - .offset:         46
        .size:           2
        .value_kind:     hidden_group_size_y
      - .offset:         48
        .size:           2
        .value_kind:     hidden_group_size_z
      - .offset:         50
        .size:           2
        .value_kind:     hidden_remainder_x
      - .offset:         52
        .size:           2
        .value_kind:     hidden_remainder_y
      - .offset:         54
        .size:           2
        .value_kind:     hidden_remainder_z
      - .offset:         72
        .size:           8
        .value_kind:     hidden_global_offset_x
      - .offset:         80
        .size:           8
        .value_kind:     hidden_global_offset_y
      - .offset:         88
        .size:           8
        .value_kind:     hidden_global_offset_z
      - .offset:         96
        .size:           2
        .value_kind:     hidden_grid_dims
    .group_segment_fixed_size: 0
    .kernarg_segment_align: 8
    .kernarg_segment_size: 288
    .language:       OpenCL C
    .language_version:
      - 2
      - 0
    .max_flat_workgroup_size: 1024
    .name:           _Z17k_cube_select_twoiiiPKiPi
    .private_segment_fixed_size: 0
    .sgpr_count:     36
    .sgpr_spill_count: 0
    .symbol:         _Z17k_cube_select_twoiiiPKiPi.kd
    .uniform_work_group_size: 1
    .uses_dynamic_stack: false
    .vgpr_count:     32
    .vgpr_spill_count: 0
    .wavefront_size: 32
    .workgroup_processor_mode: 1
  - .args:
      - .offset:         0
        .size:           4
        .value_kind:     by_value
      - .offset:         4
        .size:           4
        .value_kind:     by_value
      - .offset:         8
        .size:           4
        .value_kind:     by_value
      - .address_space:  global
        .offset:         16
        .size:           8
        .value_kind:     global_buffer
      - .address_space:  global
        .offset:         24
        .size:           8
        .value_kind:     global_buffer
      - .offset:         32
        .size:           4
        .value_kind:     hidden_block_count_x
      - .offset:         36
        .size:           4
        .value_kind:     hidden_block_count_y
      - .offset:         40
        .size:           4
        .value_kind:     hidden_block_count_z
      - .offset:         44
        .size:           2
        .value_kind:     hidden_group_size_x
      - .offset:         46
        .size:           2
        .value_kind:     hidden_group_size_y
      - .offset:         48
        .size:           2
        .value_kind:     hidden_group_size_z
      - .offset:         50
        .size:           2
        .value_kind:     hidden_remainder_x
      - .offset:         52
        .size:           2
        .value_kind:     hidden_remainder_y
      - .offset:         54
        .size:           2
        .value_kind:     hidden_remainder_z
      - .offset:         72
        .size:           8
        .value_kind:     hidden_global_offset_x
      - .offset:         80
        .size:           8
        .value_kind:     hidden_global_offset_y
      - .offset:         88
        .size:           8
        .value_kind:     hidden_global_offset_z
      - .offset:         96
        .size:           2
        .value_kind:     hidden_grid_dims
    .group_segment_fixed_size: 0
    .kernarg_segment_align: 8
    .kernarg_segment_size: 288
    .language:       OpenCL C
    .language_version:
      - 2
      - 0
    .max_flat_workgroup_size: 1024
    .name:           _Z18k_cube_select_fouriiiPKiPi
    .private_segment_fixed_size: 0
    .sgpr_count:     87
    .sgpr_spill_count: 0
    .symbol:         _Z18k_cube_select_fouriiiPKiPi.kd
    .uniform_work_group_size: 1
    .uses_dynamic_stack: false
    .vgpr_count:     52
    .vgpr_spill_count: 0
    .wavefront_size: 32
    .workgroup_processor_mode: 1
amdhsa.target:   amdgcn-amd-amdhsa--gfx1030
amdhsa.version:
  - 1
  - 2
...

	.end_amdgpu_metadata
